;; amdgpu-corpus repo=ROCm/rocFFT kind=compiled arch=gfx1030 opt=O3
	.text
	.amdgcn_target "amdgcn-amd-amdhsa--gfx1030"
	.amdhsa_code_object_version 6
	.protected	fft_rtc_back_len2592_factors_6_6_6_6_2_wgs_216_tpt_216_halfLds_dp_ip_CI_sbrr_dirReg ; -- Begin function fft_rtc_back_len2592_factors_6_6_6_6_2_wgs_216_tpt_216_halfLds_dp_ip_CI_sbrr_dirReg
	.globl	fft_rtc_back_len2592_factors_6_6_6_6_2_wgs_216_tpt_216_halfLds_dp_ip_CI_sbrr_dirReg
	.p2align	8
	.type	fft_rtc_back_len2592_factors_6_6_6_6_2_wgs_216_tpt_216_halfLds_dp_ip_CI_sbrr_dirReg,@function
fft_rtc_back_len2592_factors_6_6_6_6_2_wgs_216_tpt_216_halfLds_dp_ip_CI_sbrr_dirReg: ; @fft_rtc_back_len2592_factors_6_6_6_6_2_wgs_216_tpt_216_halfLds_dp_ip_CI_sbrr_dirReg
; %bb.0:
	s_clause 0x2
	s_load_dwordx2 s[14:15], s[4:5], 0x18
	s_load_dwordx4 s[8:11], s[4:5], 0x0
	s_load_dwordx2 s[12:13], s[4:5], 0x50
	v_mul_u32_u24_e32 v1, 0x130, v0
	v_mov_b32_e32 v3, 0
	v_add_nc_u32_sdwa v5, s6, v1 dst_sel:DWORD dst_unused:UNUSED_PAD src0_sel:DWORD src1_sel:WORD_1
	v_mov_b32_e32 v1, 0
	v_mov_b32_e32 v6, v3
	v_mov_b32_e32 v2, 0
	s_waitcnt lgkmcnt(0)
	s_load_dwordx2 s[2:3], s[14:15], 0x0
	v_cmp_lt_u64_e64 s0, s[10:11], 2
	s_and_b32 vcc_lo, exec_lo, s0
	s_cbranch_vccnz .LBB0_8
; %bb.1:
	s_load_dwordx2 s[0:1], s[4:5], 0x10
	v_mov_b32_e32 v1, 0
	s_add_u32 s6, s14, 8
	v_mov_b32_e32 v2, 0
	s_addc_u32 s7, s15, 0
	s_mov_b64 s[18:19], 1
	s_waitcnt lgkmcnt(0)
	s_add_u32 s16, s0, 8
	s_addc_u32 s17, s1, 0
.LBB0_2:                                ; =>This Inner Loop Header: Depth=1
	s_load_dwordx2 s[20:21], s[16:17], 0x0
                                        ; implicit-def: $vgpr7_vgpr8
	s_mov_b32 s0, exec_lo
	s_waitcnt lgkmcnt(0)
	v_or_b32_e32 v4, s21, v6
	v_cmpx_ne_u64_e32 0, v[3:4]
	s_xor_b32 s1, exec_lo, s0
	s_cbranch_execz .LBB0_4
; %bb.3:                                ;   in Loop: Header=BB0_2 Depth=1
	v_cvt_f32_u32_e32 v4, s20
	v_cvt_f32_u32_e32 v7, s21
	s_sub_u32 s0, 0, s20
	s_subb_u32 s22, 0, s21
	v_fmac_f32_e32 v4, 0x4f800000, v7
	v_rcp_f32_e32 v4, v4
	v_mul_f32_e32 v4, 0x5f7ffffc, v4
	v_mul_f32_e32 v7, 0x2f800000, v4
	v_trunc_f32_e32 v7, v7
	v_fmac_f32_e32 v4, 0xcf800000, v7
	v_cvt_u32_f32_e32 v7, v7
	v_cvt_u32_f32_e32 v4, v4
	v_mul_lo_u32 v8, s0, v7
	v_mul_hi_u32 v9, s0, v4
	v_mul_lo_u32 v10, s22, v4
	v_add_nc_u32_e32 v8, v9, v8
	v_mul_lo_u32 v9, s0, v4
	v_add_nc_u32_e32 v8, v8, v10
	v_mul_hi_u32 v10, v4, v9
	v_mul_lo_u32 v11, v4, v8
	v_mul_hi_u32 v12, v4, v8
	v_mul_hi_u32 v13, v7, v9
	v_mul_lo_u32 v9, v7, v9
	v_mul_hi_u32 v14, v7, v8
	v_mul_lo_u32 v8, v7, v8
	v_add_co_u32 v10, vcc_lo, v10, v11
	v_add_co_ci_u32_e32 v11, vcc_lo, 0, v12, vcc_lo
	v_add_co_u32 v9, vcc_lo, v10, v9
	v_add_co_ci_u32_e32 v9, vcc_lo, v11, v13, vcc_lo
	v_add_co_ci_u32_e32 v10, vcc_lo, 0, v14, vcc_lo
	v_add_co_u32 v8, vcc_lo, v9, v8
	v_add_co_ci_u32_e32 v9, vcc_lo, 0, v10, vcc_lo
	v_add_co_u32 v4, vcc_lo, v4, v8
	v_add_co_ci_u32_e32 v7, vcc_lo, v7, v9, vcc_lo
	v_mul_hi_u32 v8, s0, v4
	v_mul_lo_u32 v10, s22, v4
	v_mul_lo_u32 v9, s0, v7
	v_add_nc_u32_e32 v8, v8, v9
	v_mul_lo_u32 v9, s0, v4
	v_add_nc_u32_e32 v8, v8, v10
	v_mul_hi_u32 v10, v4, v9
	v_mul_lo_u32 v11, v4, v8
	v_mul_hi_u32 v12, v4, v8
	v_mul_hi_u32 v13, v7, v9
	v_mul_lo_u32 v9, v7, v9
	v_mul_hi_u32 v14, v7, v8
	v_mul_lo_u32 v8, v7, v8
	v_add_co_u32 v10, vcc_lo, v10, v11
	v_add_co_ci_u32_e32 v11, vcc_lo, 0, v12, vcc_lo
	v_add_co_u32 v9, vcc_lo, v10, v9
	v_add_co_ci_u32_e32 v9, vcc_lo, v11, v13, vcc_lo
	v_add_co_ci_u32_e32 v10, vcc_lo, 0, v14, vcc_lo
	v_add_co_u32 v8, vcc_lo, v9, v8
	v_add_co_ci_u32_e32 v9, vcc_lo, 0, v10, vcc_lo
	v_add_co_u32 v4, vcc_lo, v4, v8
	v_add_co_ci_u32_e32 v11, vcc_lo, v7, v9, vcc_lo
	v_mul_hi_u32 v13, v5, v4
	v_mad_u64_u32 v[9:10], null, v6, v4, 0
	v_mad_u64_u32 v[7:8], null, v5, v11, 0
	;; [unrolled: 1-line block ×3, first 2 shown]
	v_add_co_u32 v4, vcc_lo, v13, v7
	v_add_co_ci_u32_e32 v7, vcc_lo, 0, v8, vcc_lo
	v_add_co_u32 v4, vcc_lo, v4, v9
	v_add_co_ci_u32_e32 v4, vcc_lo, v7, v10, vcc_lo
	v_add_co_ci_u32_e32 v7, vcc_lo, 0, v12, vcc_lo
	v_add_co_u32 v4, vcc_lo, v4, v11
	v_add_co_ci_u32_e32 v9, vcc_lo, 0, v7, vcc_lo
	v_mul_lo_u32 v10, s21, v4
	v_mad_u64_u32 v[7:8], null, s20, v4, 0
	v_mul_lo_u32 v11, s20, v9
	v_sub_co_u32 v7, vcc_lo, v5, v7
	v_add3_u32 v8, v8, v11, v10
	v_sub_nc_u32_e32 v10, v6, v8
	v_subrev_co_ci_u32_e64 v10, s0, s21, v10, vcc_lo
	v_add_co_u32 v11, s0, v4, 2
	v_add_co_ci_u32_e64 v12, s0, 0, v9, s0
	v_sub_co_u32 v13, s0, v7, s20
	v_sub_co_ci_u32_e32 v8, vcc_lo, v6, v8, vcc_lo
	v_subrev_co_ci_u32_e64 v10, s0, 0, v10, s0
	v_cmp_le_u32_e32 vcc_lo, s20, v13
	v_cmp_eq_u32_e64 s0, s21, v8
	v_cndmask_b32_e64 v13, 0, -1, vcc_lo
	v_cmp_le_u32_e32 vcc_lo, s21, v10
	v_cndmask_b32_e64 v14, 0, -1, vcc_lo
	v_cmp_le_u32_e32 vcc_lo, s20, v7
	;; [unrolled: 2-line block ×3, first 2 shown]
	v_cndmask_b32_e64 v15, 0, -1, vcc_lo
	v_cmp_eq_u32_e32 vcc_lo, s21, v10
	v_cndmask_b32_e64 v7, v15, v7, s0
	v_cndmask_b32_e32 v10, v14, v13, vcc_lo
	v_add_co_u32 v13, vcc_lo, v4, 1
	v_add_co_ci_u32_e32 v14, vcc_lo, 0, v9, vcc_lo
	v_cmp_ne_u32_e32 vcc_lo, 0, v10
	v_cndmask_b32_e32 v8, v14, v12, vcc_lo
	v_cndmask_b32_e32 v10, v13, v11, vcc_lo
	v_cmp_ne_u32_e32 vcc_lo, 0, v7
	v_cndmask_b32_e32 v8, v9, v8, vcc_lo
	v_cndmask_b32_e32 v7, v4, v10, vcc_lo
.LBB0_4:                                ;   in Loop: Header=BB0_2 Depth=1
	s_andn2_saveexec_b32 s0, s1
	s_cbranch_execz .LBB0_6
; %bb.5:                                ;   in Loop: Header=BB0_2 Depth=1
	v_cvt_f32_u32_e32 v4, s20
	s_sub_i32 s1, 0, s20
	v_rcp_iflag_f32_e32 v4, v4
	v_mul_f32_e32 v4, 0x4f7ffffe, v4
	v_cvt_u32_f32_e32 v4, v4
	v_mul_lo_u32 v7, s1, v4
	v_mul_hi_u32 v7, v4, v7
	v_add_nc_u32_e32 v4, v4, v7
	v_mul_hi_u32 v4, v5, v4
	v_mul_lo_u32 v7, v4, s20
	v_add_nc_u32_e32 v8, 1, v4
	v_sub_nc_u32_e32 v7, v5, v7
	v_subrev_nc_u32_e32 v9, s20, v7
	v_cmp_le_u32_e32 vcc_lo, s20, v7
	v_cndmask_b32_e32 v7, v7, v9, vcc_lo
	v_cndmask_b32_e32 v4, v4, v8, vcc_lo
	v_cmp_le_u32_e32 vcc_lo, s20, v7
	v_add_nc_u32_e32 v8, 1, v4
	v_cndmask_b32_e32 v7, v4, v8, vcc_lo
	v_mov_b32_e32 v8, v3
.LBB0_6:                                ;   in Loop: Header=BB0_2 Depth=1
	s_or_b32 exec_lo, exec_lo, s0
	s_load_dwordx2 s[0:1], s[6:7], 0x0
	v_mul_lo_u32 v4, v8, s20
	v_mul_lo_u32 v11, v7, s21
	v_mad_u64_u32 v[9:10], null, v7, s20, 0
	s_add_u32 s18, s18, 1
	s_addc_u32 s19, s19, 0
	s_add_u32 s6, s6, 8
	s_addc_u32 s7, s7, 0
	;; [unrolled: 2-line block ×3, first 2 shown]
	v_add3_u32 v4, v10, v11, v4
	v_sub_co_u32 v5, vcc_lo, v5, v9
	v_sub_co_ci_u32_e32 v4, vcc_lo, v6, v4, vcc_lo
	s_waitcnt lgkmcnt(0)
	v_mul_lo_u32 v6, s1, v5
	v_mul_lo_u32 v4, s0, v4
	v_mad_u64_u32 v[1:2], null, s0, v5, v[1:2]
	v_cmp_ge_u64_e64 s0, s[18:19], s[10:11]
	s_and_b32 vcc_lo, exec_lo, s0
	v_add3_u32 v2, v6, v2, v4
	s_cbranch_vccnz .LBB0_9
; %bb.7:                                ;   in Loop: Header=BB0_2 Depth=1
	v_mov_b32_e32 v5, v7
	v_mov_b32_e32 v6, v8
	s_branch .LBB0_2
.LBB0_8:
	v_mov_b32_e32 v8, v6
	v_mov_b32_e32 v7, v5
.LBB0_9:
	s_lshl_b64 s[0:1], s[10:11], 3
	v_mul_hi_u32 v3, 0x12f684c, v0
	s_add_u32 s0, s14, s0
	s_addc_u32 s1, s15, s1
	s_load_dwordx2 s[4:5], s[4:5], 0x20
	s_load_dwordx2 s[0:1], s[0:1], 0x0
                                        ; implicit-def: $vgpr52
                                        ; implicit-def: $vgpr57
                                        ; implicit-def: $vgpr54
                                        ; implicit-def: $vgpr59
                                        ; implicit-def: $vgpr55
	v_mul_u32_u24_e32 v3, 0xd8, v3
	v_sub_nc_u32_e32 v48, v0, v3
	v_add_nc_u32_e32 v69, 0xd8, v48
	v_add_nc_u32_e32 v67, 0x1b0, v48
	;; [unrolled: 1-line block ×5, first 2 shown]
	s_waitcnt lgkmcnt(0)
	v_cmp_gt_u64_e32 vcc_lo, s[4:5], v[7:8]
	v_mul_lo_u32 v3, s0, v8
	v_mul_lo_u32 v4, s1, v7
	v_mad_u64_u32 v[0:1], null, s0, v7, v[1:2]
	v_cmp_le_u64_e64 s0, s[4:5], v[7:8]
	v_add3_u32 v1, v4, v1, v3
	s_and_saveexec_b32 s1, s0
	s_xor_b32 s0, exec_lo, s1
; %bb.10:
	v_add_nc_u32_e32 v52, 0xd8, v48
	v_add_nc_u32_e32 v57, 0x1b0, v48
	;; [unrolled: 1-line block ×5, first 2 shown]
; %bb.11:
	s_or_saveexec_b32 s1, s0
	v_lshlrev_b64 v[50:51], 4, v[0:1]
	v_add_nc_u32_e32 v73, 0x510, v48
	v_add_nc_u32_e32 v72, 0x6c0, v48
	;; [unrolled: 1-line block ×4, first 2 shown]
                                        ; implicit-def: $vgpr18_vgpr19
                                        ; implicit-def: $vgpr14_vgpr15
                                        ; implicit-def: $vgpr46_vgpr47
                                        ; implicit-def: $vgpr38_vgpr39
                                        ; implicit-def: $vgpr42_vgpr43
                                        ; implicit-def: $vgpr22_vgpr23
                                        ; implicit-def: $vgpr6_vgpr7
                                        ; implicit-def: $vgpr10_vgpr11
                                        ; implicit-def: $vgpr30_vgpr31
                                        ; implicit-def: $vgpr34_vgpr35
                                        ; implicit-def: $vgpr26_vgpr27
                                        ; implicit-def: $vgpr2_vgpr3
	s_xor_b32 exec_lo, exec_lo, s1
	s_cbranch_execz .LBB0_13
; %bb.12:
	v_mad_u64_u32 v[0:1], null, s2, v48, 0
	v_mad_u64_u32 v[2:3], null, s2, v67, 0
	;; [unrolled: 1-line block ×4, first 2 shown]
	v_add_co_u32 v42, s0, s12, v50
	v_mad_u64_u32 v[8:9], null, s3, v48, v[1:2]
	v_mad_u64_u32 v[9:10], null, s3, v67, v[3:4]
	v_mov_b32_e32 v3, v7
	v_add_co_ci_u32_e64 v43, s0, s13, v51, s0
	v_add_nc_u32_e32 v14, 0x870, v48
	v_mov_b32_e32 v1, v8
	v_mad_u64_u32 v[7:8], null, s3, v66, v[5:6]
	v_mad_u64_u32 v[10:11], null, s3, v73, v[3:4]
	v_mov_b32_e32 v3, v9
	v_lshlrev_b64 v[0:1], 4, v[0:1]
	v_mad_u64_u32 v[8:9], null, s2, v72, 0
	v_mov_b32_e32 v5, v7
	v_lshlrev_b64 v[2:3], 4, v[2:3]
	v_mov_b32_e32 v7, v10
	v_add_co_u32 v0, s0, v42, v0
	v_add_co_ci_u32_e64 v1, s0, v43, v1, s0
	v_add_co_u32 v10, s0, v42, v2
	v_add_co_ci_u32_e64 v11, s0, v43, v3, s0
	v_lshlrev_b64 v[2:3], 4, v[4:5]
	v_lshlrev_b64 v[4:5], 4, v[6:7]
	v_mad_u64_u32 v[6:7], null, s2, v14, 0
	v_mad_u64_u32 v[17:18], null, s2, v70, 0
	v_add_co_u32 v12, s0, v42, v2
	v_add_co_ci_u32_e64 v13, s0, v43, v3, s0
	v_mad_u64_u32 v[2:3], null, s3, v72, v[9:10]
	v_mov_b32_e32 v3, v7
	v_add_co_u32 v4, s0, v42, v4
	v_add_co_ci_u32_e64 v5, s0, v43, v5, s0
	v_mad_u64_u32 v[19:20], null, s2, v74, 0
	v_mad_u64_u32 v[14:15], null, s3, v14, v[3:4]
	;; [unrolled: 1-line block ×3, first 2 shown]
	v_mov_b32_e32 v9, v2
	s_clause 0x3
	global_load_dwordx4 v[0:3], v[0:1], off
	global_load_dwordx4 v[24:27], v[10:11], off
	;; [unrolled: 1-line block ×4, first 2 shown]
	v_mad_u64_u32 v[12:13], null, s2, v68, 0
	v_mov_b32_e32 v7, v14
	v_lshlrev_b64 v[4:5], 4, v[8:9]
	v_mov_b32_e32 v8, v16
	v_add_nc_u32_e32 v41, 0x948, v48
	v_mov_b32_e32 v59, v68
	v_lshlrev_b64 v[6:7], 4, v[6:7]
	v_mov_b32_e32 v57, v67
	v_mad_u64_u32 v[8:9], null, s3, v69, v[8:9]
	v_mov_b32_e32 v9, v13
	v_add_co_u32 v4, s0, v42, v4
	v_add_co_ci_u32_e64 v5, s0, v43, v5, s0
	v_mad_u64_u32 v[13:14], null, s3, v68, v[9:10]
	v_mov_b32_e32 v16, v8
	v_mov_b32_e32 v14, v18
	v_add_co_u32 v6, s0, v42, v6
	v_add_co_ci_u32_e64 v7, s0, v43, v7, s0
	v_lshlrev_b64 v[15:16], 4, v[15:16]
	v_lshlrev_b64 v[12:13], 4, v[12:13]
	s_clause 0x1
	global_load_dwordx4 v[8:11], v[4:5], off
	global_load_dwordx4 v[4:7], v[6:7], off
	v_mad_u64_u32 v[21:22], null, s3, v70, v[14:15]
	v_mov_b32_e32 v14, v20
	v_mad_u64_u32 v[22:23], null, s2, v71, 0
	v_mad_u64_u32 v[36:37], null, s3, v74, v[14:15]
	;; [unrolled: 1-line block ×3, first 2 shown]
	v_add_co_u32 v14, s0, v42, v15
	v_add_co_ci_u32_e64 v15, s0, v43, v16, s0
	v_mov_b32_e32 v16, v23
	v_mov_b32_e32 v18, v21
	;; [unrolled: 1-line block ×3, first 2 shown]
	v_add_co_u32 v12, s0, v42, v12
	v_mad_u64_u32 v[39:40], null, s3, v71, v[16:17]
	v_lshlrev_b64 v[17:18], 4, v[17:18]
	v_mov_b32_e32 v16, v38
	v_lshlrev_b64 v[19:20], 4, v[19:20]
	v_add_co_ci_u32_e64 v13, s0, v43, v13, s0
	v_mad_u64_u32 v[40:41], null, s3, v41, v[16:17]
	v_mov_b32_e32 v23, v39
	v_add_co_u32 v16, s0, v42, v17
	v_add_co_ci_u32_e64 v17, s0, v43, v18, s0
	v_lshlrev_b64 v[21:22], 4, v[22:23]
	v_mov_b32_e32 v38, v40
	v_add_co_u32 v18, s0, v42, v19
	v_add_co_ci_u32_e64 v19, s0, v43, v20, s0
	v_lshlrev_b64 v[36:37], 4, v[37:38]
	v_add_co_u32 v52, s0, v42, v21
	v_add_co_ci_u32_e64 v53, s0, v43, v22, s0
	v_add_co_u32 v54, s0, v42, v36
	v_add_co_ci_u32_e64 v55, s0, v43, v37, s0
	s_clause 0x5
	global_load_dwordx4 v[20:23], v[14:15], off
	global_load_dwordx4 v[40:43], v[12:13], off
	;; [unrolled: 1-line block ×6, first 2 shown]
	v_mov_b32_e32 v55, v70
	v_mov_b32_e32 v54, v66
	;; [unrolled: 1-line block ×3, first 2 shown]
.LBB0_13:
	s_or_b32 exec_lo, exec_lo, s1
	s_waitcnt vmcnt(6)
	v_add_f64 v[60:61], v[6:7], v[30:31]
	s_waitcnt vmcnt(0)
	v_add_f64 v[62:63], v[18:19], v[46:47]
	v_add_f64 v[64:65], v[4:5], v[28:29]
	v_add_f64 v[77:78], v[28:29], -v[4:5]
	v_add_f64 v[75:76], v[16:17], v[44:45]
	v_add_f64 v[79:80], v[44:45], -v[16:17]
	s_mov_b32 s6, 0xe8584caa
	s_mov_b32 s7, 0xbfebb67a
	;; [unrolled: 1-line block ×4, first 2 shown]
	v_add_f64 v[85:86], v[8:9], v[32:33]
	v_add_f64 v[28:29], v[28:29], v[24:25]
	;; [unrolled: 1-line block ×6, first 2 shown]
	v_add_f64 v[87:88], v[34:35], -v[10:11]
	v_add_f64 v[34:35], v[10:11], v[34:35]
	v_add_f64 v[91:92], v[36:37], v[20:21]
	;; [unrolled: 1-line block ×4, first 2 shown]
	v_add_f64 v[38:39], v[38:39], -v[14:15]
	v_fma_f64 v[60:61], v[60:61], -0.5, v[26:27]
	v_fma_f64 v[62:63], v[62:63], -0.5, v[42:43]
	v_add_f64 v[26:27], v[30:31], v[26:27]
	v_add_f64 v[30:31], v[30:31], -v[6:7]
	v_fma_f64 v[24:25], v[64:65], -0.5, v[24:25]
	v_add_f64 v[64:65], v[46:47], -v[18:19]
	v_add_f64 v[42:43], v[46:47], v[42:43]
	v_fma_f64 v[40:41], v[75:76], -0.5, v[40:41]
	v_add_f64 v[32:33], v[32:33], -v[8:9]
	v_add_f64 v[36:37], v[36:37], -v[12:13]
	v_fma_f64 v[0:1], v[85:86], -0.5, v[0:1]
	v_add_f64 v[4:5], v[4:5], v[28:29]
	v_add_f64 v[16:17], v[16:17], v[44:45]
	v_fma_f64 v[20:21], v[89:90], -0.5, v[20:21]
	v_add_f64 v[8:9], v[8:9], v[81:82]
	v_add_f64 v[83:84], v[10:11], v[83:84]
	v_mul_u32_u24_e32 v49, 6, v48
	v_fma_f64 v[2:3], v[34:35], -0.5, v[2:3]
	v_add_f64 v[12:13], v[12:13], v[91:92]
	v_mul_i32_i24_e32 v53, 6, v52
	v_fma_f64 v[22:23], v[97:98], -0.5, v[22:23]
	v_lshl_add_u32 v105, v49, 3, 0
	v_fma_f64 v[46:47], v[77:78], s[4:5], v[60:61]
	v_fma_f64 v[60:61], v[77:78], s[6:7], v[60:61]
	;; [unrolled: 1-line block ×6, first 2 shown]
	v_add_f64 v[26:27], v[6:7], v[26:27]
	v_fma_f64 v[101:102], v[64:65], s[6:7], v[40:41]
	v_fma_f64 v[40:41], v[64:65], s[4:5], v[40:41]
	v_add_f64 v[42:43], v[18:19], v[42:43]
	v_fma_f64 v[44:45], v[87:88], s[6:7], v[0:1]
	v_and_b32_e32 v80, 0xff, v48
	v_lshl_add_u32 v77, v53, 3, 0
	v_fma_f64 v[91:92], v[38:39], s[6:7], v[20:21]
	v_fma_f64 v[38:39], v[38:39], s[4:5], v[20:21]
	v_add_f64 v[6:7], v[8:9], -v[4:5]
	v_mul_lo_u16 v53, 0xab, v80
	v_fma_f64 v[97:98], v[32:33], s[6:7], v[2:3]
	v_mov_b32_e32 v79, 0xaaab
	v_mad_i32_i24 v78, 0xffffffd8, v48, v105
	v_lshl_add_u32 v76, v54, 3, 0
	v_lshrrev_b16 v85, 10, v53
	v_mul_f64 v[30:31], v[46:47], s[6:7]
	v_mul_f64 v[103:104], v[60:61], s[6:7]
	;; [unrolled: 1-line block ×4, first 2 shown]
	v_mul_f64 v[34:35], v[60:61], -0.5
	v_fma_f64 v[60:61], v[87:88], s[4:5], v[0:1]
	v_mul_f64 v[28:29], v[99:100], s[4:5]
	v_mul_f64 v[81:82], v[101:102], s[4:5]
	v_mul_f64 v[62:63], v[62:63], -0.5
	v_add_f64 v[0:1], v[4:5], v[8:9]
	v_add_f64 v[8:9], v[16:17], v[12:13]
	v_add_nc_u32_e32 v56, 0x2100, v78
	v_add_nc_u32_e32 v58, 0x2f00, v78
	;; [unrolled: 1-line block ×3, first 2 shown]
	v_mad_i32_i24 v49, 0xffffffd8, v52, v77
	v_lshl_add_u32 v75, v57, 3, 0
	v_mul_lo_u16 v80, v80, 57
	v_lshrrev_b16 v80, 11, v80
	v_fma_f64 v[30:31], v[99:100], 0.5, v[30:31]
	v_fma_f64 v[86:87], v[24:25], -0.5, v[103:104]
	v_fma_f64 v[20:21], v[101:102], 0.5, v[64:65]
	v_fma_f64 v[64:65], v[40:41], -0.5, v[89:90]
	v_add_f64 v[88:89], v[14:15], v[95:96]
	v_fma_f64 v[95:96], v[32:33], s[4:5], v[2:3]
	v_add_f64 v[14:15], v[12:13], -v[16:17]
	v_fma_f64 v[99:100], v[36:37], s[4:5], v[22:23]
	v_fma_f64 v[101:102], v[36:37], s[6:7], v[22:23]
	v_fma_f64 v[36:37], v[46:47], 0.5, v[28:29]
	v_fma_f64 v[34:35], v[24:25], s[4:5], v[34:35]
	v_fma_f64 v[46:47], v[93:94], 0.5, v[81:82]
	v_fma_f64 v[62:63], v[40:41], s[4:5], v[62:63]
	v_add_f64 v[24:25], v[26:27], v[83:84]
	v_mul_lo_u16 v81, v85, 6
	v_sub_nc_u16 v82, v48, v81
	v_mov_b32_e32 v81, 0xe38f
	v_add_f64 v[2:3], v[44:45], v[30:31]
	v_add_f64 v[4:5], v[60:61], v[86:87]
	v_add_f64 v[16:17], v[44:45], -v[30:31]
	v_add_f64 v[18:19], v[60:61], -v[86:87]
	v_add_f64 v[10:11], v[91:92], v[20:21]
	v_add_f64 v[12:13], v[38:39], v[64:65]
	v_add_f64 v[20:21], v[91:92], -v[20:21]
	v_add_f64 v[22:23], v[38:39], -v[64:65]
	;; [unrolled: 1-line block ×3, first 2 shown]
	v_add_f64 v[32:33], v[42:43], v[88:89]
	v_add_f64 v[38:39], v[88:89], -v[42:43]
	v_add_f64 v[26:27], v[95:96], v[36:37]
	v_add_f64 v[28:29], v[97:98], v[34:35]
	v_add_f64 v[42:43], v[97:98], -v[34:35]
	v_add_f64 v[34:35], v[99:100], v[46:47]
	v_add_f64 v[40:41], v[95:96], -v[36:37]
	;; [unrolled: 2-line block ×3, first 2 shown]
	v_add_f64 v[46:47], v[101:102], -v[62:63]
	v_mul_u32_u24_sdwa v81, v52, v81 dst_sel:DWORD dst_unused:UNUSED_PAD src0_sel:WORD_0 src1_sel:DWORD
	ds_write_b128 v105, v[0:3]
	ds_write_b128 v105, v[4:7] offset:16
	ds_write_b128 v105, v[16:19] offset:32
	ds_write_b128 v77, v[8:11]
	ds_write_b128 v77, v[12:15] offset:16
	ds_write_b128 v77, v[20:23] offset:32
	v_mul_u32_u24_sdwa v0, v52, v79 dst_sel:DWORD dst_unused:UNUSED_PAD src0_sel:WORD_0 src1_sel:DWORD
	v_mov_b32_e32 v79, 5
	s_waitcnt lgkmcnt(0)
	s_barrier
	buffer_gl0_inv
	v_lshrrev_b32_e32 v83, 18, v0
	v_mul_u32_u24_sdwa v1, v82, v79 dst_sel:DWORD dst_unused:UNUSED_PAD src0_sel:BYTE_0 src1_sel:DWORD
	ds_read2_b64 v[86:89], v56 offset0:24 offset1:240
	ds_read2_b64 v[8:11], v58 offset0:8 offset1:224
	;; [unrolled: 1-line block ×3, first 2 shown]
	ds_read_b64 v[64:65], v76
	ds_read_b64 v[16:17], v49
	;; [unrolled: 1-line block ×3, first 2 shown]
	ds_read_b64 v[62:63], v78 offset:5184
	ds_read_b64 v[60:61], v75
	ds_read_b64 v[106:107], v78 offset:19008
	s_waitcnt lgkmcnt(0)
	s_barrier
	v_mul_lo_u16 v0, v83, 6
	v_lshlrev_b32_e32 v20, 4, v1
	buffer_gl0_inv
	ds_write_b128 v105, v[24:27]
	ds_write_b128 v105, v[28:31] offset:16
	ds_write_b128 v105, v[40:43] offset:32
	ds_write_b128 v77, v[32:35]
	ds_write_b128 v77, v[36:39] offset:16
	ds_write_b128 v77, v[44:47] offset:32
	v_sub_nc_u16 v84, v52, v0
	s_waitcnt lgkmcnt(0)
	s_barrier
	buffer_gl0_inv
	global_load_dwordx4 v[12:15], v20, s[8:9] offset:48
	v_mul_u32_u24_sdwa v0, v84, v79 dst_sel:DWORD dst_unused:UNUSED_PAD src0_sel:WORD_0 src1_sel:DWORD
	v_lshrrev_b32_e32 v81, 21, v81
	v_lshlrev_b32_e32 v21, 4, v0
	s_clause 0x8
	global_load_dwordx4 v[24:27], v21, s[8:9] offset:32
	global_load_dwordx4 v[28:31], v20, s[8:9]
	global_load_dwordx4 v[36:39], v21, s[8:9] offset:64
	global_load_dwordx4 v[42:45], v20, s[8:9] offset:32
	;; [unrolled: 1-line block ×5, first 2 shown]
	global_load_dwordx4 v[98:101], v21, s[8:9]
	global_load_dwordx4 v[102:105], v20, s[8:9] offset:16
	ds_read2_b64 v[32:35], v58 offset0:8 offset1:224
	ds_read_b64 v[40:41], v75
	ds_read_b64 v[110:111], v78 offset:19008
	s_waitcnt vmcnt(9) lgkmcnt(2)
	v_mul_f64 v[20:21], v[34:35], v[14:15]
	v_mul_f64 v[14:15], v[10:11], v[14:15]
	s_waitcnt vmcnt(8)
	v_mul_f64 v[46:47], v[32:33], v[26:27]
	v_mul_f64 v[108:109], v[8:9], v[26:27]
	s_waitcnt vmcnt(7) lgkmcnt(1)
	v_mul_f64 v[112:113], v[40:41], v[30:31]
	v_mul_f64 v[30:31], v[60:61], v[30:31]
	v_fma_f64 v[22:23], v[10:11], v[12:13], v[20:21]
	v_fma_f64 v[20:21], v[34:35], v[12:13], -v[14:15]
	v_fma_f64 v[26:27], v[8:9], v[24:25], v[46:47]
	v_fma_f64 v[24:25], v[32:33], v[24:25], -v[108:109]
	s_waitcnt vmcnt(6) lgkmcnt(0)
	v_mul_f64 v[46:47], v[110:111], v[38:39]
	v_mul_f64 v[38:39], v[106:107], v[38:39]
	v_fma_f64 v[32:33], v[60:61], v[28:29], v[112:113]
	s_waitcnt vmcnt(5)
	v_mul_f64 v[60:61], v[88:89], v[44:45]
	s_waitcnt vmcnt(4)
	v_mul_f64 v[108:109], v[92:93], v[96:97]
	ds_read2_b64 v[8:11], v56 offset0:24 offset1:240
	ds_read_b64 v[114:115], v78 offset:5184
	ds_read2_b64 v[12:15], v53 offset0:24 offset1:240
	v_fma_f64 v[34:35], v[40:41], v[28:29], -v[30:31]
	ds_read_b64 v[112:113], v76
	v_fma_f64 v[30:31], v[106:107], v[36:37], v[46:47]
	v_fma_f64 v[28:29], v[110:111], v[36:37], -v[38:39]
	ds_read_b64 v[38:39], v78
	s_waitcnt lgkmcnt(4)
	v_mul_f64 v[44:45], v[10:11], v[44:45]
	s_waitcnt vmcnt(3)
	v_mul_f64 v[46:47], v[8:9], v[6:7]
	s_waitcnt lgkmcnt(2)
	v_mul_f64 v[96:97], v[14:15], v[96:97]
	s_waitcnt vmcnt(2)
	v_mul_f64 v[106:107], v[12:13], v[2:3]
	v_fma_f64 v[40:41], v[10:11], v[42:43], -v[60:61]
	v_fma_f64 v[10:11], v[14:15], v[94:95], -v[108:109]
	s_waitcnt vmcnt(1)
	v_mul_f64 v[60:61], v[62:63], v[100:101]
	ds_read_b64 v[14:15], v49
	s_waitcnt vmcnt(0) lgkmcnt(0)
	s_barrier
	buffer_gl0_inv
	v_fma_f64 v[42:43], v[88:89], v[42:43], v[44:45]
	v_mul_f64 v[88:89], v[112:113], v[104:105]
	v_fma_f64 v[36:37], v[86:87], v[4:5], v[46:47]
	v_mul_f64 v[44:45], v[86:87], v[6:7]
	;; [unrolled: 2-line block ×3, first 2 shown]
	v_mul_f64 v[46:47], v[90:91], v[2:3]
	v_fma_f64 v[2:3], v[90:91], v[0:1], v[106:107]
	v_add_f64 v[90:91], v[40:41], v[10:11]
	v_mul_f64 v[92:93], v[114:115], v[100:101]
	v_fma_f64 v[60:61], v[114:115], v[98:99], -v[60:61]
	v_add_f64 v[94:95], v[24:25], v[28:29]
	v_add_f64 v[100:101], v[26:27], -v[30:31]
	v_mov_b32_e32 v104, 0x120
	v_fma_f64 v[64:65], v[64:65], v[102:103], v[88:89]
	v_fma_f64 v[4:5], v[8:9], v[4:5], -v[44:45]
	v_add_f64 v[88:89], v[42:43], v[6:7]
	v_fma_f64 v[86:87], v[112:113], v[102:103], -v[86:87]
	v_add_f64 v[96:97], v[42:43], -v[6:7]
	v_fma_f64 v[0:1], v[12:13], v[0:1], -v[46:47]
	v_fma_f64 v[90:91], v[90:91], -0.5, v[34:35]
	v_fma_f64 v[92:93], v[62:63], v[98:99], v[92:93]
	v_add_f64 v[98:99], v[26:27], v[30:31]
	v_fma_f64 v[94:95], v[94:95], -0.5, v[60:61]
	v_mov_b32_e32 v62, 3
	v_mul_u32_u24_sdwa v102, v85, v104 dst_sel:DWORD dst_unused:UNUSED_PAD src0_sel:WORD_0 src1_sel:DWORD
	v_mul_lo_u16 v85, v81, 36
	v_mul_u32_u24_e32 v47, 0x120, v83
	v_add_f64 v[12:13], v[40:41], -v[10:11]
	v_lshlrev_b32_sdwa v103, v62, v82 dst_sel:DWORD dst_unused:UNUSED_PAD src0_sel:DWORD src1_sel:BYTE_0
	v_lshlrev_b32_sdwa v104, v62, v84 dst_sel:DWORD dst_unused:UNUSED_PAD src0_sel:DWORD src1_sel:WORD_0
	v_sub_nc_u16 v44, v52, v85
	v_add_f64 v[45:46], v[36:37], v[2:3]
	v_add_f64 v[34:35], v[34:35], v[40:41]
	v_add3_u32 v112, 0, v102, v103
	v_add_f64 v[8:9], v[64:65], v[22:23]
	v_add3_u32 v47, 0, v47, v104
	v_mul_lo_u16 v63, v80, 36
	v_fma_f64 v[82:83], v[88:89], -0.5, v[32:33]
	v_add_f64 v[88:89], v[24:25], -v[28:29]
	v_add_f64 v[102:103], v[86:87], v[20:21]
	v_add_f64 v[32:33], v[32:33], v[42:43]
	v_fma_f64 v[84:85], v[96:97], s[4:5], v[90:91]
	v_fma_f64 v[90:91], v[96:97], s[6:7], v[90:91]
	v_fma_f64 v[96:97], v[98:99], -0.5, v[92:93]
	v_fma_f64 v[98:99], v[100:101], s[4:5], v[94:95]
	v_fma_f64 v[94:95], v[100:101], s[6:7], v[94:95]
	v_add_f64 v[26:27], v[92:93], v[26:27]
	v_add_f64 v[100:101], v[18:19], v[64:65]
	;; [unrolled: 1-line block ×4, first 2 shown]
	v_add_f64 v[64:65], v[64:65], -v[22:23]
	v_add_f64 v[104:105], v[38:39], v[86:87]
	v_add_f64 v[86:87], v[86:87], -v[20:21]
	v_add_f64 v[40:41], v[4:5], -v[0:1]
	v_fma_f64 v[16:17], v[45:46], -0.5, v[16:17]
	v_add_f64 v[4:5], v[14:15], v[4:5]
	v_fma_f64 v[8:9], v[8:9], -0.5, v[18:19]
	v_add_f64 v[24:25], v[60:61], v[24:25]
	v_add_f64 v[36:37], v[36:37], -v[2:3]
	v_fma_f64 v[18:19], v[12:13], s[6:7], v[82:83]
	v_fma_f64 v[12:13], v[12:13], s[4:5], v[82:83]
	v_fma_f64 v[38:39], v[102:103], -0.5, v[38:39]
	v_add_f64 v[6:7], v[32:33], v[6:7]
	v_mul_f64 v[45:46], v[84:85], s[6:7]
	v_mul_f64 v[32:33], v[84:85], 0.5
	v_fma_f64 v[92:93], v[88:89], s[6:7], v[96:97]
	v_fma_f64 v[88:89], v[88:89], s[4:5], v[96:97]
	v_mul_f64 v[96:97], v[94:95], s[6:7]
	v_mul_f64 v[82:83], v[90:91], s[6:7]
	v_add_f64 v[26:27], v[26:27], v[30:31]
	v_mul_f64 v[30:31], v[90:91], -0.5
	v_mul_f64 v[108:109], v[98:99], s[6:7]
	v_add_f64 v[22:23], v[100:101], v[22:23]
	v_fma_f64 v[14:15], v[106:107], -0.5, v[14:15]
	v_add_f64 v[2:3], v[42:43], v[2:3]
	v_mul_f64 v[60:61], v[98:99], 0.5
	v_mul_f64 v[84:85], v[94:95], -0.5
	v_add_f64 v[20:21], v[104:105], v[20:21]
	v_fma_f64 v[42:43], v[86:87], s[6:7], v[8:9]
	v_fma_f64 v[8:9], v[86:87], s[4:5], v[8:9]
	;; [unrolled: 1-line block ×4, first 2 shown]
	v_add_f64 v[10:11], v[34:35], v[10:11]
	v_add_f64 v[0:1], v[4:5], v[0:1]
	;; [unrolled: 1-line block ×3, first 2 shown]
	v_fma_f64 v[45:46], v[18:19], 0.5, v[45:46]
	v_fma_f64 v[24:25], v[64:65], s[4:5], v[38:39]
	v_fma_f64 v[18:19], v[18:19], s[4:5], v[32:33]
	;; [unrolled: 1-line block ×3, first 2 shown]
	v_fma_f64 v[40:41], v[88:89], -0.5, v[96:97]
	v_fma_f64 v[82:83], v[12:13], -0.5, v[82:83]
	v_sub_nc_u16 v63, v48, v63
	v_fma_f64 v[12:13], v[12:13], s[4:5], v[30:31]
	v_fma_f64 v[90:91], v[92:93], 0.5, v[108:109]
	v_fma_f64 v[34:35], v[36:37], s[4:5], v[14:15]
	v_fma_f64 v[14:15], v[36:37], s[6:7], v[14:15]
	v_add_f64 v[36:37], v[22:23], v[6:7]
	v_add_f64 v[6:7], v[22:23], -v[6:7]
	v_add_f64 v[22:23], v[2:3], v[26:27]
	v_add_f64 v[2:3], v[2:3], -v[26:27]
	v_fma_f64 v[26:27], v[92:93], s[4:5], v[60:61]
	v_fma_f64 v[30:31], v[88:89], s[4:5], v[84:85]
	v_mul_u32_u24_sdwa v110, v63, v79 dst_sel:DWORD dst_unused:UNUSED_PAD src0_sel:BYTE_0 src1_sel:DWORD
	v_add_f64 v[32:33], v[42:43], v[45:46]
	v_add_f64 v[38:39], v[42:43], -v[45:46]
	v_add_f64 v[84:85], v[24:25], v[18:19]
	v_add_f64 v[18:19], v[24:25], -v[18:19]
	;; [unrolled: 2-line block ×3, first 2 shown]
	v_add_f64 v[40:41], v[20:21], v[10:11]
	v_add_f64 v[42:43], v[8:9], v[82:83]
	v_add_f64 v[20:21], v[20:21], -v[10:11]
	v_add_f64 v[24:25], v[28:29], v[12:13]
	v_add_f64 v[8:9], v[8:9], -v[82:83]
	v_add_f64 v[12:13], v[28:29], -v[12:13]
	v_add_f64 v[45:46], v[86:87], v[90:91]
	v_add_f64 v[60:61], v[86:87], -v[90:91]
	v_add_f64 v[82:83], v[0:1], v[4:5]
	v_add_f64 v[4:5], v[0:1], -v[4:5]
	v_add_f64 v[86:87], v[34:35], v[26:27]
	v_add_f64 v[88:89], v[14:15], v[30:31]
	v_add_f64 v[34:35], v[34:35], -v[26:27]
	v_add_f64 v[14:15], v[14:15], -v[30:31]
	v_lshlrev_b32_e32 v98, 4, v110
	ds_write2_b64 v112, v[36:37], v[32:33] offset1:6
	ds_write2_b64 v112, v[42:43], v[6:7] offset0:12 offset1:18
	ds_write2_b64 v112, v[38:39], v[8:9] offset0:24 offset1:30
	ds_write2_b64 v47, v[22:23], v[45:46] offset1:6
	ds_write2_b64 v47, v[64:65], v[2:3] offset0:12 offset1:18
	ds_write2_b64 v47, v[60:61], v[16:17] offset0:24 offset1:30
	s_waitcnt lgkmcnt(0)
	s_barrier
	buffer_gl0_inv
	ds_read2_b64 v[26:29], v56 offset0:24 offset1:240
	ds_read2_b64 v[8:11], v58 offset0:8 offset1:224
	;; [unrolled: 1-line block ×3, first 2 shown]
	ds_read_b64 v[45:46], v76
	ds_read_b64 v[0:1], v49
	;; [unrolled: 1-line block ×3, first 2 shown]
	ds_read_b64 v[60:61], v78 offset:5184
	ds_read_b64 v[64:65], v75
	ds_read_b64 v[110:111], v78 offset:19008
	s_waitcnt lgkmcnt(0)
	s_barrier
	buffer_gl0_inv
	ds_write2_b64 v112, v[40:41], v[84:85] offset1:6
	ds_write2_b64 v112, v[24:25], v[20:21] offset0:12 offset1:18
	ds_write2_b64 v112, v[18:19], v[12:13] offset0:24 offset1:30
	ds_write2_b64 v47, v[82:83], v[86:87] offset1:6
	ds_write2_b64 v47, v[88:89], v[4:5] offset0:12 offset1:18
	ds_write2_b64 v47, v[34:35], v[14:15] offset0:24 offset1:30
	v_mul_u32_u24_sdwa v12, v44, v79 dst_sel:DWORD dst_unused:UNUSED_PAD src0_sel:WORD_0 src1_sel:DWORD
	s_waitcnt lgkmcnt(0)
	s_barrier
	buffer_gl0_inv
	global_load_dwordx4 v[4:7], v98, s[8:9] offset:528
	v_lshlrev_b32_e32 v20, 4, v12
	s_clause 0x8
	global_load_dwordx4 v[12:15], v20, s[8:9] offset:512
	global_load_dwordx4 v[16:19], v98, s[8:9] offset:480
	;; [unrolled: 1-line block ×9, first 2 shown]
	ds_read2_b64 v[20:23], v58 offset0:8 offset1:224
	ds_read_b64 v[112:113], v75
	ds_read_b64 v[114:115], v78 offset:19008
	v_mul_u32_u24_e32 v47, 5, v48
	v_mov_b32_e32 v79, 0x6c0
	v_lshlrev_b32_e32 v47, 4, v47
	v_add_co_u32 v47, s0, s8, v47
	s_waitcnt vmcnt(8) lgkmcnt(2)
	v_mul_f64 v[102:103], v[20:21], v[14:15]
	v_mul_f64 v[14:15], v[8:9], v[14:15]
	;; [unrolled: 1-line block ×3, first 2 shown]
	s_waitcnt vmcnt(7) lgkmcnt(1)
	v_mul_f64 v[116:117], v[112:113], v[18:19]
	v_mul_f64 v[18:19], v[64:65], v[18:19]
	;; [unrolled: 1-line block ×3, first 2 shown]
	v_fma_f64 v[6:7], v[10:11], v[4:5], v[24:25]
	v_fma_f64 v[10:11], v[8:9], v[12:13], v[102:103]
	v_fma_f64 v[8:9], v[20:21], v[12:13], -v[14:15]
	s_waitcnt vmcnt(6) lgkmcnt(0)
	v_mul_f64 v[12:13], v[114:115], v[32:33]
	v_mul_f64 v[14:15], v[110:111], v[32:33]
	s_waitcnt vmcnt(5)
	v_mul_f64 v[24:25], v[28:29], v[42:43]
	v_fma_f64 v[20:21], v[112:113], v[16:17], -v[18:19]
	s_waitcnt vmcnt(4)
	v_mul_f64 v[18:19], v[38:39], v[84:85]
	ds_read2_b64 v[102:105], v56 offset0:24 offset1:240
	ds_read_b64 v[118:119], v78 offset:5184
	ds_read2_b64 v[106:109], v53 offset0:24 offset1:240
	v_fma_f64 v[4:5], v[22:23], v[4:5], -v[34:35]
	v_fma_f64 v[22:23], v[64:65], v[16:17], v[116:117]
	ds_read_b64 v[64:65], v76
	v_fma_f64 v[16:17], v[110:111], v[30:31], v[12:13]
	v_fma_f64 v[12:13], v[114:115], v[30:31], -v[14:15]
	ds_read_b64 v[30:31], v78
	s_waitcnt lgkmcnt(4)
	v_mul_f64 v[34:35], v[104:105], v[42:43]
	s_waitcnt vmcnt(3)
	v_mul_f64 v[42:43], v[102:103], v[88:89]
	s_waitcnt lgkmcnt(2)
	v_mul_f64 v[84:85], v[108:109], v[84:85]
	s_waitcnt vmcnt(2)
	v_mul_f64 v[110:111], v[106:107], v[92:93]
	v_fma_f64 v[32:33], v[104:105], v[40:41], -v[24:25]
	v_fma_f64 v[14:15], v[108:109], v[82:83], -v[18:19]
	s_waitcnt vmcnt(1)
	v_mul_f64 v[104:105], v[60:61], v[96:97]
	ds_read_b64 v[18:19], v49
	s_waitcnt vmcnt(0) lgkmcnt(0)
	s_barrier
	buffer_gl0_inv
	v_fma_f64 v[34:35], v[28:29], v[40:41], v[34:35]
	v_mul_f64 v[40:41], v[64:65], v[100:101]
	v_fma_f64 v[24:25], v[26:27], v[86:87], v[42:43]
	v_mul_f64 v[42:43], v[26:27], v[88:89]
	v_fma_f64 v[26:27], v[38:39], v[82:83], v[84:85]
	v_mul_f64 v[38:39], v[45:46], v[100:101]
	v_mul_f64 v[82:83], v[36:37], v[92:93]
	v_fma_f64 v[28:29], v[36:37], v[90:91], v[110:111]
	v_add_f64 v[36:37], v[32:33], v[14:15]
	v_mul_f64 v[84:85], v[118:119], v[96:97]
	v_fma_f64 v[88:89], v[118:119], v[94:95], -v[104:105]
	v_add_f64 v[92:93], v[8:9], v[12:13]
	v_mul_u32_u24_e32 v110, 0x6c0, v81
	v_add_co_ci_u32_e64 v96, null, s9, 0, s0
	v_mul_u32_u24_sdwa v104, v80, v79 dst_sel:DWORD dst_unused:UNUSED_PAD src0_sel:WORD_0 src1_sel:DWORD
	v_add_co_u32 v79, s0, 0x800, v47
	v_add_co_ci_u32_e64 v80, s0, 0, v96, s0
	v_fma_f64 v[40:41], v[45:46], v[98:99], v[40:41]
	v_add_f64 v[108:109], v[0:1], v[24:25]
	v_fma_f64 v[42:43], v[102:103], v[86:87], -v[42:43]
	v_add_f64 v[45:46], v[34:35], v[26:27]
	v_fma_f64 v[38:39], v[64:65], v[98:99], -v[38:39]
	v_add_f64 v[64:65], v[34:35], -v[26:27]
	v_fma_f64 v[81:82], v[106:107], v[90:91], -v[82:83]
	v_fma_f64 v[36:37], v[36:37], -0.5, v[20:21]
	v_fma_f64 v[60:61], v[60:61], v[94:95], v[84:85]
	v_add_f64 v[84:85], v[10:11], v[16:17]
	v_add_f64 v[94:95], v[10:11], -v[16:17]
	v_fma_f64 v[92:93], v[92:93], -0.5, v[88:89]
	v_add_co_u32 v86, s0, 0xd20, v47
	v_lshlrev_b32_sdwa v47, v62, v63 dst_sel:DWORD dst_unused:UNUSED_PAD src0_sel:DWORD src1_sel:BYTE_0
	v_add_co_ci_u32_e64 v87, s0, 0, v96, s0
	v_add_f64 v[96:97], v[32:33], -v[14:15]
	v_add_f64 v[98:99], v[24:25], v[28:29]
	v_add_f64 v[102:103], v[8:9], -v[12:13]
	v_add3_u32 v111, 0, v104, v47
	v_add_f64 v[20:21], v[20:21], v[32:33]
	v_add_f64 v[90:91], v[40:41], v[6:7]
	v_add_f64 v[24:25], v[24:25], -v[28:29]
	v_add_f64 v[8:9], v[88:89], v[8:9]
	v_fma_f64 v[45:46], v[45:46], -0.5, v[22:23]
	v_add_f64 v[104:105], v[38:39], v[4:5]
	v_add_f64 v[106:107], v[30:31], v[38:39]
	;; [unrolled: 1-line block ×3, first 2 shown]
	v_fma_f64 v[100:101], v[64:65], s[4:5], v[36:37]
	v_fma_f64 v[36:37], v[64:65], s[6:7], v[36:37]
	v_fma_f64 v[63:64], v[84:85], -0.5, v[60:61]
	v_add_f64 v[34:35], v[38:39], -v[4:5]
	v_fma_f64 v[83:84], v[94:95], s[4:5], v[92:93]
	v_fma_f64 v[92:93], v[94:95], s[6:7], v[92:93]
	v_add_f64 v[94:95], v[2:3], v[40:41]
	v_add_f64 v[38:39], v[42:43], v[81:82]
	v_add_f64 v[10:11], v[60:61], v[10:11]
	v_lshlrev_b32_sdwa v85, v62, v44 dst_sel:DWORD dst_unused:UNUSED_PAD src0_sel:DWORD src1_sel:WORD_0
	v_add_f64 v[40:41], v[40:41], -v[6:7]
	v_add_f64 v[32:33], v[42:43], -v[81:82]
	v_fma_f64 v[0:1], v[98:99], -0.5, v[0:1]
	v_add_f64 v[42:43], v[18:19], v[42:43]
	v_add_f64 v[14:15], v[20:21], v[14:15]
	v_fma_f64 v[2:3], v[90:91], -0.5, v[2:3]
	v_add3_u32 v85, 0, v110, v85
	v_add_f64 v[8:9], v[8:9], v[12:13]
	v_fma_f64 v[60:61], v[96:97], s[6:7], v[45:46]
	v_fma_f64 v[44:45], v[96:97], s[4:5], v[45:46]
	v_fma_f64 v[30:31], v[104:105], -0.5, v[30:31]
	v_add_f64 v[22:23], v[22:23], v[26:27]
	v_mul_f64 v[90:91], v[100:101], s[6:7]
	v_mul_f64 v[46:47], v[36:37], s[6:7]
	v_fma_f64 v[96:97], v[102:103], s[6:7], v[63:64]
	v_fma_f64 v[62:63], v[102:103], s[4:5], v[63:64]
	v_add_f64 v[26:27], v[108:109], v[28:29]
	v_mul_f64 v[64:65], v[92:93], s[6:7]
	v_add_f64 v[6:7], v[94:95], v[6:7]
	v_fma_f64 v[18:19], v[38:39], -0.5, v[18:19]
	v_mul_f64 v[28:29], v[100:101], 0.5
	v_add_f64 v[10:11], v[10:11], v[16:17]
	v_mul_f64 v[16:17], v[36:37], -0.5
	v_mul_f64 v[98:99], v[83:84], s[6:7]
	v_mul_f64 v[38:39], v[83:84], 0.5
	v_mul_f64 v[83:84], v[92:93], -0.5
	v_add_f64 v[4:5], v[106:107], v[4:5]
	v_fma_f64 v[36:37], v[34:35], s[6:7], v[2:3]
	v_fma_f64 v[2:3], v[34:35], s[4:5], v[2:3]
	v_add_f64 v[20:21], v[42:43], v[81:82]
	v_fma_f64 v[12:13], v[40:41], s[4:5], v[30:31]
	v_fma_f64 v[30:31], v[40:41], s[6:7], v[30:31]
	v_fma_f64 v[88:89], v[60:61], 0.5, v[90:91]
	v_fma_f64 v[34:35], v[44:45], -0.5, v[46:47]
	v_fma_f64 v[46:47], v[32:33], s[6:7], v[0:1]
	v_fma_f64 v[0:1], v[32:33], s[4:5], v[0:1]
	v_fma_f64 v[32:33], v[62:63], -0.5, v[64:65]
	v_add_f64 v[40:41], v[6:7], v[22:23]
	v_add_f64 v[6:7], v[6:7], -v[22:23]
	v_fma_f64 v[22:23], v[24:25], s[4:5], v[18:19]
	v_fma_f64 v[18:19], v[24:25], s[6:7], v[18:19]
	;; [unrolled: 1-line block ×4, first 2 shown]
	v_fma_f64 v[90:91], v[96:97], 0.5, v[98:99]
	v_add_f64 v[28:29], v[26:27], v[10:11]
	v_add_f64 v[10:11], v[26:27], -v[10:11]
	v_fma_f64 v[26:27], v[96:97], s[4:5], v[38:39]
	v_fma_f64 v[38:39], v[62:63], s[4:5], v[83:84]
	v_add_f64 v[62:63], v[20:21], v[8:9]
	v_add_f64 v[20:21], v[20:21], -v[8:9]
	v_add_f64 v[42:43], v[36:37], v[88:89]
	v_add_f64 v[44:45], v[2:3], v[34:35]
	v_add_f64 v[36:37], v[36:37], -v[88:89]
	v_add_f64 v[2:3], v[2:3], -v[34:35]
	v_add_f64 v[60:61], v[0:1], v[32:33]
	v_add_f64 v[0:1], v[0:1], -v[32:33]
	v_add_f64 v[32:33], v[4:5], v[14:15]
	;; [unrolled: 2-line block ×5, first 2 shown]
	v_add_f64 v[30:31], v[22:23], v[26:27]
	v_add_f64 v[22:23], v[22:23], -v[26:27]
	v_add_f64 v[26:27], v[18:19], v[38:39]
	v_add_f64 v[46:47], v[46:47], -v[90:91]
	v_add_f64 v[18:19], v[18:19], -v[38:39]
	ds_write2_b64 v111, v[40:41], v[42:43] offset1:36
	ds_write2_b64 v111, v[44:45], v[6:7] offset0:72 offset1:108
	ds_write2_b64 v111, v[36:37], v[2:3] offset0:144 offset1:180
	ds_write2_b64 v85, v[28:29], v[34:35] offset1:36
	ds_write2_b64 v85, v[60:61], v[10:11] offset0:72 offset1:108
	ds_write2_b64 v85, v[46:47], v[0:1] offset0:144 offset1:180
	s_waitcnt lgkmcnt(0)
	s_barrier
	buffer_gl0_inv
	ds_read2_b64 v[0:3], v56 offset0:24 offset1:240
	ds_read2_b64 v[4:7], v58 offset0:8 offset1:224
	;; [unrolled: 1-line block ×3, first 2 shown]
	ds_read_b64 v[45:46], v76
	ds_read_b64 v[60:61], v49
	;; [unrolled: 1-line block ×3, first 2 shown]
	ds_read_b64 v[83:84], v78 offset:5184
	ds_read_b64 v[88:89], v75
	ds_read_b64 v[90:91], v78 offset:19008
	s_waitcnt lgkmcnt(0)
	s_barrier
	buffer_gl0_inv
	ds_write2_b64 v111, v[32:33], v[64:65] offset1:36
	ds_write2_b64 v111, v[24:25], v[14:15] offset0:72 offset1:108
	ds_write2_b64 v111, v[12:13], v[16:17] offset0:144 offset1:180
	ds_write2_b64 v85, v[62:63], v[30:31] offset1:36
	ds_write2_b64 v85, v[26:27], v[20:21] offset0:72 offset1:108
	ds_write2_b64 v85, v[22:23], v[18:19] offset0:144 offset1:180
	s_waitcnt lgkmcnt(0)
	s_barrier
	buffer_gl0_inv
	s_clause 0x4
	global_load_dwordx4 v[12:15], v[86:87], off offset:32
	global_load_dwordx4 v[16:19], v[79:80], off offset:1376
	;; [unrolled: 1-line block ×5, first 2 shown]
	ds_read2_b64 v[33:36], v56 offset0:24 offset1:240
	ds_read2_b64 v[37:40], v58 offset0:8 offset1:224
	ds_read_b64 v[62:63], v78 offset:19008
	ds_read2_b64 v[41:44], v53 offset0:24 offset1:240
	ds_read_b64 v[94:95], v75
	ds_read_b64 v[102:103], v76
	v_add_nc_u32_e32 v47, 0xd00, v78
	v_add_nc_u32_e32 v53, 0x1a00, v78
	v_lshl_add_u32 v24, v59, 3, 0
	s_waitcnt vmcnt(4)
	v_mul_f64 v[64:65], v[2:3], v[14:15]
	s_waitcnt vmcnt(3)
	v_mul_f64 v[79:80], v[10:11], v[18:19]
	v_mul_f64 v[85:86], v[4:5], v[14:15]
	;; [unrolled: 1-line block ×3, first 2 shown]
	s_waitcnt lgkmcnt(5)
	v_mul_f64 v[96:97], v[35:36], v[14:15]
	s_waitcnt lgkmcnt(4)
	v_mul_f64 v[14:15], v[37:38], v[14:15]
	s_waitcnt vmcnt(2)
	v_mul_f64 v[98:99], v[88:89], v[22:23]
	s_waitcnt lgkmcnt(2)
	v_mul_f64 v[100:101], v[43:44], v[18:19]
	v_mul_f64 v[18:19], v[62:63], v[18:19]
	v_fma_f64 v[35:36], v[35:36], v[12:13], -v[64:65]
	ds_read_b64 v[64:65], v78 offset:5184
	v_fma_f64 v[43:44], v[43:44], v[16:17], -v[79:80]
	v_mul_f64 v[79:80], v[83:84], v[22:23]
	v_fma_f64 v[37:38], v[37:38], v[12:13], -v[85:86]
	v_fma_f64 v[62:63], v[62:63], v[16:17], -v[92:93]
	s_waitcnt vmcnt(1)
	v_mul_f64 v[85:86], v[39:40], v[27:28]
	s_waitcnt lgkmcnt(2)
	v_mul_f64 v[106:107], v[94:95], v[22:23]
	v_fma_f64 v[2:3], v[2:3], v[12:13], v[96:97]
	v_fma_f64 v[4:5], v[4:5], v[12:13], v[14:15]
	s_waitcnt vmcnt(0)
	v_mul_f64 v[12:13], v[33:34], v[31:32]
	s_waitcnt lgkmcnt(1)
	v_mul_f64 v[14:15], v[102:103], v[31:32]
	v_fma_f64 v[94:95], v[94:95], v[20:21], -v[98:99]
	v_mul_f64 v[96:97], v[41:42], v[27:28]
	v_fma_f64 v[10:11], v[10:11], v[16:17], v[100:101]
	v_fma_f64 v[16:17], v[90:91], v[16:17], v[18:19]
	v_mul_f64 v[90:91], v[45:46], v[31:32]
	v_mul_f64 v[31:32], v[0:1], v[31:32]
	ds_read_b64 v[92:93], v49
	ds_read_b64 v[104:105], v78
	s_waitcnt lgkmcnt(0)
	s_barrier
	v_mul_f64 v[22:23], v[64:65], v[22:23]
	buffer_gl0_inv
	v_add_f64 v[18:19], v[35:36], v[43:44]
	v_fma_f64 v[64:65], v[64:65], v[20:21], -v[79:80]
	v_add_f64 v[79:80], v[37:38], v[62:63]
	v_fma_f64 v[85:86], v[6:7], v[25:26], v[85:86]
	v_mul_f64 v[6:7], v[6:7], v[27:28]
	v_fma_f64 v[87:88], v[88:89], v[20:21], v[106:107]
	v_mul_f64 v[27:28], v[8:9], v[27:28]
	v_fma_f64 v[0:1], v[0:1], v[29:30], v[12:13]
	v_fma_f64 v[14:15], v[45:46], v[29:30], v[14:15]
	;; [unrolled: 1-line block ×3, first 2 shown]
	v_add_f64 v[12:13], v[2:3], v[10:11]
	v_add_f64 v[45:46], v[2:3], -v[10:11]
	v_fma_f64 v[89:90], v[102:103], v[29:30], -v[90:91]
	v_fma_f64 v[29:30], v[33:34], v[29:30], -v[31:32]
	v_add_f64 v[96:97], v[37:38], -v[62:63]
	v_fma_f64 v[20:21], v[83:84], v[20:21], v[22:23]
	v_add_f64 v[22:23], v[4:5], v[16:17]
	v_add_f64 v[83:84], v[4:5], -v[16:17]
	v_fma_f64 v[18:19], v[18:19], -0.5, v[94:95]
	v_add_f64 v[37:38], v[64:65], v[37:38]
	v_fma_f64 v[79:80], v[79:80], -0.5, v[64:65]
	v_fma_f64 v[6:7], v[39:40], v[25:26], -v[6:7]
	v_add_f64 v[39:40], v[35:36], -v[43:44]
	v_fma_f64 v[31:32], v[41:42], v[25:26], -v[27:28]
	v_add_f64 v[2:3], v[87:88], v[2:3]
	v_add_f64 v[33:34], v[14:15], v[85:86]
	;; [unrolled: 1-line block ×4, first 2 shown]
	v_fma_f64 v[12:13], v[12:13], -0.5, v[87:88]
	v_add_f64 v[87:88], v[60:61], v[0:1]
	v_add_f64 v[100:101], v[104:105], v[89:90]
	v_add_f64 v[0:1], v[0:1], -v[8:9]
	v_add_nc_u32_e32 v26, 0x2800, v78
	v_add_nc_u32_e32 v27, 0x3600, v78
	v_lshl_add_u32 v25, v55, 3, 0
	v_add_f64 v[4:5], v[20:21], v[4:5]
	v_fma_f64 v[22:23], v[22:23], -0.5, v[20:21]
	v_fma_f64 v[98:99], v[45:46], s[4:5], v[18:19]
	v_fma_f64 v[18:19], v[45:46], s[6:7], v[18:19]
	;; [unrolled: 1-line block ×4, first 2 shown]
	v_add_f64 v[83:84], v[81:82], v[14:15]
	v_add_f64 v[102:103], v[89:90], v[6:7]
	v_add_f64 v[89:90], v[89:90], -v[6:7]
	v_add_f64 v[106:107], v[29:30], v[31:32]
	v_fma_f64 v[33:34], v[33:34], -0.5, v[81:82]
	v_add_f64 v[20:21], v[29:30], -v[31:32]
	v_fma_f64 v[41:42], v[41:42], -0.5, v[60:61]
	v_fma_f64 v[60:61], v[39:40], s[6:7], v[12:13]
	v_fma_f64 v[12:13], v[39:40], s[4:5], v[12:13]
	v_add_f64 v[14:15], v[14:15], -v[85:86]
	v_add_f64 v[28:29], v[92:93], v[29:30]
	v_add_f64 v[2:3], v[2:3], v[10:11]
	v_add_f64 v[8:9], v[87:88], v[8:9]
	v_add_f64 v[6:7], v[100:101], v[6:7]
	v_add_f64 v[4:5], v[4:5], v[16:17]
	v_fma_f64 v[108:109], v[96:97], s[6:7], v[22:23]
	v_fma_f64 v[22:23], v[96:97], s[4:5], v[22:23]
	v_mul_f64 v[39:40], v[98:99], s[6:7]
	v_mul_f64 v[81:82], v[18:19], s[6:7]
	v_mul_f64 v[16:17], v[98:99], 0.5
	v_mul_f64 v[96:97], v[45:46], s[6:7]
	v_mul_f64 v[110:111], v[79:80], s[6:7]
	v_add_f64 v[83:84], v[83:84], v[85:86]
	v_fma_f64 v[64:65], v[102:103], -0.5, v[104:105]
	v_mul_f64 v[18:19], v[18:19], -0.5
	v_fma_f64 v[10:11], v[106:107], -0.5, v[92:93]
	v_fma_f64 v[85:86], v[89:90], s[6:7], v[33:34]
	v_mul_f64 v[45:46], v[45:46], 0.5
	v_mul_f64 v[79:80], v[79:80], -0.5
	v_fma_f64 v[33:34], v[89:90], s[4:5], v[33:34]
	v_fma_f64 v[87:88], v[20:21], s[6:7], v[41:42]
	;; [unrolled: 1-line block ×3, first 2 shown]
	v_add_f64 v[35:36], v[35:36], v[43:44]
	v_add_f64 v[29:30], v[28:29], v[31:32]
	;; [unrolled: 1-line block ×3, first 2 shown]
	v_add_nc_u32_e32 v28, 0x4300, v78
	v_fma_f64 v[39:40], v[60:61], 0.5, v[39:40]
	v_fma_f64 v[81:82], v[12:13], -0.5, v[81:82]
	v_fma_f64 v[41:42], v[108:109], 0.5, v[96:97]
	v_fma_f64 v[89:90], v[22:23], -0.5, v[110:111]
	v_add_f64 v[43:44], v[83:84], v[2:3]
	v_fma_f64 v[37:38], v[14:15], s[4:5], v[64:65]
	v_fma_f64 v[14:15], v[14:15], s[6:7], v[64:65]
	;; [unrolled: 1-line block ×6, first 2 shown]
	v_add_f64 v[16:17], v[8:9], v[4:5]
	v_add_f64 v[4:5], v[8:9], -v[4:5]
	v_fma_f64 v[8:9], v[108:109], s[4:5], v[45:46]
	v_fma_f64 v[18:19], v[22:23], s[4:5], v[79:80]
	v_add_f64 v[2:3], v[83:84], -v[2:3]
	v_add_f64 v[79:80], v[6:7], v[35:36]
	v_add_f64 v[35:36], v[6:7], -v[35:36]
	v_add_f64 v[22:23], v[85:86], v[39:40]
	v_add_f64 v[45:46], v[33:34], v[81:82]
	v_add_f64 v[39:40], v[85:86], -v[39:40]
	v_add_f64 v[33:34], v[33:34], -v[81:82]
	v_add_f64 v[60:61], v[87:88], v[41:42]
	v_add_f64 v[64:65], v[20:21], v[89:90]
	v_add_f64 v[41:42], v[87:88], -v[41:42]
	v_add_f64 v[20:21], v[20:21], -v[89:90]
	v_add_f64 v[81:82], v[29:30], v[31:32]
	v_add_f64 v[29:30], v[29:30], -v[31:32]
	v_add_f64 v[31:32], v[37:38], v[10:11]
	v_add_f64 v[83:84], v[14:15], v[12:13]
	v_add_f64 v[37:38], v[37:38], -v[10:11]
	v_add_f64 v[85:86], v[14:15], -v[12:13]
	v_add_f64 v[87:88], v[62:63], v[8:9]
	v_add_f64 v[89:90], v[0:1], v[18:19]
	v_add_f64 v[62:63], v[62:63], -v[8:9]
	v_add_f64 v[91:92], v[0:1], -v[18:19]
	ds_write2_b64 v78, v[43:44], v[22:23] offset1:216
	ds_write2_b64 v47, v[45:46], v[2:3] offset0:16 offset1:232
	ds_write2_b64 v53, v[39:40], v[33:34] offset0:32 offset1:248
	;; [unrolled: 1-line block ×3, first 2 shown]
	ds_write2_b64 v27, v[64:65], v[4:5] offset1:216
	ds_write2_b64 v28, v[41:42], v[20:21] offset0:16 offset1:232
	s_waitcnt lgkmcnt(0)
	s_barrier
	buffer_gl0_inv
	ds_read2_b64 v[0:3], v26 offset0:16 offset1:232
	ds_read_b64 v[18:19], v78
	ds_read_b64 v[12:13], v75
	ds_read2_b64 v[4:7], v27 offset1:216
	ds_read_b64 v[16:17], v24
	ds_read_b64 v[14:15], v76
	ds_read2_b64 v[8:11], v28 offset0:16 offset1:232
	ds_read_b64 v[22:23], v49
	ds_read_b64 v[20:21], v25
	s_waitcnt lgkmcnt(0)
	s_barrier
	buffer_gl0_inv
	ds_write2_b64 v78, v[79:80], v[31:32] offset1:216
	ds_write2_b64 v47, v[83:84], v[35:36] offset0:16 offset1:232
	ds_write2_b64 v53, v[37:38], v[85:86] offset0:32 offset1:248
	ds_write2_b64 v26, v[81:82], v[87:88] offset0:16 offset1:232
	ds_write2_b64 v27, v[89:90], v[29:30] offset1:216
	ds_write2_b64 v28, v[62:63], v[91:92] offset0:16 offset1:232
	s_waitcnt lgkmcnt(0)
	s_barrier
	buffer_gl0_inv
	s_and_saveexec_b32 s0, vcc_lo
	s_cbranch_execz .LBB0_15
; %bb.14:
	v_mov_b32_e32 v56, 0
	v_mad_u64_u32 v[83:84], null, s2, v48, 0
	v_mad_u64_u32 v[85:86], null, s2, v74, 0
	v_mov_b32_e32 v60, v56
	v_mov_b32_e32 v58, v56
	;; [unrolled: 1-line block ×3, first 2 shown]
	v_lshlrev_b64 v[31:32], 4, v[55:56]
	v_mov_b32_e32 v53, v56
	v_lshlrev_b64 v[29:30], 4, v[59:60]
	v_lshlrev_b64 v[33:34], 4, v[57:58]
	v_mov_b32_e32 v55, v56
	v_mad_u64_u32 v[87:88], null, s2, v67, 0
	v_lshlrev_b64 v[45:46], 4, v[52:53]
	v_add_co_u32 v29, vcc_lo, s8, v29
	v_add_co_ci_u32_e32 v30, vcc_lo, s9, v30, vcc_lo
	v_add_co_u32 v35, vcc_lo, s8, v33
	v_add_co_ci_u32_e32 v36, vcc_lo, s9, v34, vcc_lo
	;; [unrolled: 2-line block ×3, first 2 shown]
	v_add_co_u32 v37, vcc_lo, 0x5000, v35
	v_lshlrev_b64 v[29:30], 4, v[48:49]
	v_add_co_ci_u32_e32 v38, vcc_lo, 0, v36, vcc_lo
	v_add_co_u32 v31, vcc_lo, s8, v31
	v_add_co_ci_u32_e32 v32, vcc_lo, s9, v32, vcc_lo
	v_add_co_u32 v35, vcc_lo, s8, v29
	;; [unrolled: 2-line block ×4, first 2 shown]
	v_lshlrev_b64 v[53:54], 4, v[54:55]
	v_add_co_ci_u32_e32 v42, vcc_lo, 0, v36, vcc_lo
	v_add_co_u32 v45, vcc_lo, s8, v45
	v_add_co_ci_u32_e32 v46, vcc_lo, s9, v46, vcc_lo
	v_add_co_u32 v47, vcc_lo, s8, v53
	;; [unrolled: 2-line block ×4, first 2 shown]
	v_add_co_ci_u32_e32 v58, vcc_lo, 0, v49, vcc_lo
	s_clause 0x5
	global_load_dwordx4 v[29:32], v[29:30], off offset:160
	global_load_dwordx4 v[33:36], v[33:34], off offset:160
	global_load_dwordx4 v[37:40], v[37:38], off offset:160
	global_load_dwordx4 v[41:44], v[41:42], off offset:160
	global_load_dwordx4 v[53:56], v[45:46], off offset:160
	global_load_dwordx4 v[57:60], v[57:58], off offset:160
	ds_read2_b64 v[61:64], v27 offset1:216
	ds_read2_b64 v[79:82], v26 offset0:16 offset1:232
	ds_read_b64 v[45:46], v25
	ds_read2_b64 v[25:28], v28 offset0:16 offset1:232
	v_add_co_u32 v111, vcc_lo, s12, v50
	v_mul_i32_i24_e32 v47, 0xffffffd8, v52
	v_add_co_ci_u32_e32 v112, vcc_lo, s13, v51, vcc_lo
	v_mad_u64_u32 v[49:50], null, s2, v73, 0
	v_mad_u64_u32 v[51:52], null, s2, v69, 0
	v_mad_u64_u32 v[89:90], null, s2, v72, 0
	v_mad_u64_u32 v[91:92], null, s2, v68, 0
	v_mul_hi_u32 v101, 0xca4587e7, v66
	v_mul_hi_u32 v102, 0xca4587e7, v70
	ds_read_b64 v[95:96], v24
	ds_read_b64 v[97:98], v76
	ds_read_b64 v[75:76], v75
	ds_read_b64 v[99:100], v78
	v_add_nc_u32_e32 v103, v77, v47
	v_mov_b32_e32 v24, v84
	v_mad_u64_u32 v[93:94], null, s2, v71, 0
	v_mov_b32_e32 v47, v50
	v_mov_b32_e32 v50, v52
	;; [unrolled: 1-line block ×6, first 2 shown]
	v_lshrrev_b32_e32 v86, 10, v101
	v_lshrrev_b32_e32 v88, 10, v102
	ds_read_b64 v[101:102], v103
	s_waitcnt lgkmcnt(5)
	v_mad_u64_u32 v[103:104], null, s3, v48, v[24:25]
	v_mad_u64_u32 v[104:105], null, s3, v69, v[50:51]
	;; [unrolled: 1-line block ×5, first 2 shown]
	v_mov_b32_e32 v84, v94
	v_mad_u32_u24 v107, 0x510, v88, v70
	v_mad_u64_u32 v[67:68], null, s3, v68, v[78:79]
	v_mov_b32_e32 v88, v105
	v_mov_b32_e32 v50, v47
	;; [unrolled: 1-line block ×3, first 2 shown]
	v_add_nc_u32_e32 v114, 0x510, v107
	v_mov_b32_e32 v92, v67
	v_lshlrev_b64 v[49:50], 4, v[49:50]
	s_waitcnt vmcnt(1)
	v_mad_u64_u32 v[73:74], null, s3, v74, v[52:53]
	v_mad_u32_u24 v74, 0x510, v86, v66
	v_mad_u64_u32 v[65:66], null, s3, v71, v[84:85]
	v_mad_u64_u32 v[70:71], null, s2, v107, 0
	;; [unrolled: 1-line block ×3, first 2 shown]
	v_mov_b32_e32 v84, v103
	v_mov_b32_e32 v86, v73
	v_mov_b32_e32 v94, v65
	v_mov_b32_e32 v52, v104
	v_mov_b32_e32 v67, v71
	v_lshlrev_b64 v[72:73], 4, v[83:84]
	v_mov_b32_e32 v24, v69
	v_lshlrev_b64 v[83:84], 4, v[87:88]
	v_lshlrev_b64 v[87:88], 4, v[91:92]
	;; [unrolled: 1-line block ×4, first 2 shown]
	v_mad_u64_u32 v[91:92], null, s3, v74, v[24:25]
	v_lshlrev_b64 v[89:90], 4, v[93:94]
	v_mad_u64_u32 v[92:93], null, s3, v107, v[67:68]
	v_mul_f64 v[93:94], v[10:11], v[31:32]
	v_mul_f64 v[31:32], v[27:28], v[31:32]
	;; [unrolled: 1-line block ×4, first 2 shown]
	v_add_nc_u32_e32 v113, 0x510, v74
	v_lshlrev_b64 v[51:52], 4, v[51:52]
	v_add_co_u32 v72, vcc_lo, v111, v72
	v_add_co_ci_u32_e32 v73, vcc_lo, v112, v73, vcc_lo
	v_mad_u64_u32 v[47:48], null, s2, v113, 0
	v_add_co_u32 v105, vcc_lo, v111, v49
	v_mul_f64 v[109:110], v[2:3], v[55:56]
	v_add_co_ci_u32_e32 v106, vcc_lo, v112, v50, vcc_lo
	v_add_co_u32 v107, vcc_lo, v111, v51
	v_mov_b32_e32 v24, v48
	v_mul_f64 v[48:49], v[6:7], v[35:36]
	v_mul_f64 v[50:51], v[4:5], v[39:40]
	v_fma_f64 v[27:28], v[27:28], v[29:30], -v[93:94]
	v_fma_f64 v[10:11], v[10:11], v[29:30], v[31:32]
	v_mul_f64 v[29:30], v[81:82], v[55:56]
	v_mul_f64 v[39:40], v[61:62], v[39:40]
	;; [unrolled: 1-line block ×3, first 2 shown]
	s_waitcnt vmcnt(0)
	v_mul_f64 v[31:32], v[8:9], v[59:60]
	v_fma_f64 v[55:56], v[79:80], v[41:42], -v[103:104]
	v_fma_f64 v[41:42], v[0:1], v[41:42], v[43:44]
	v_mul_f64 v[0:1], v[25:26], v[59:60]
	v_mad_u64_u32 v[65:66], null, s2, v114, 0
	v_add_co_ci_u32_e32 v108, vcc_lo, v112, v52, vcc_lo
	v_add_co_u32 v59, vcc_lo, v111, v77
	v_fma_f64 v[81:82], v[81:82], v[53:54], -v[109:110]
	v_add_co_ci_u32_e32 v60, vcc_lo, v112, v78, vcc_lo
	v_mov_b32_e32 v43, v66
	v_mad_u64_u32 v[66:67], null, s3, v113, v[24:25]
	v_fma_f64 v[63:64], v[63:64], v[33:34], -v[48:49]
	v_fma_f64 v[49:50], v[61:62], v[37:38], -v[50:51]
	v_add_co_u32 v77, vcc_lo, v111, v83
	v_fma_f64 v[29:30], v[2:3], v[53:54], v[29:30]
	v_fma_f64 v[37:38], v[4:5], v[37:38], v[39:40]
	;; [unrolled: 1-line block ×3, first 2 shown]
	v_fma_f64 v[35:36], v[25:26], v[57:58], -v[31:32]
	s_waitcnt lgkmcnt(1)
	v_add_f64 v[6:7], v[99:100], -v[55:56]
	v_fma_f64 v[39:40], v[8:9], v[57:58], v[0:1]
	v_mad_u64_u32 v[0:1], null, s3, v114, v[43:44]
	v_add_f64 v[4:5], v[18:19], -v[41:42]
	v_mov_b32_e32 v48, v66
	v_add_f64 v[2:3], v[45:46], -v[27:28]
	v_mov_b32_e32 v69, v91
	v_add_co_ci_u32_e32 v78, vcc_lo, v112, v84, vcc_lo
	v_mov_b32_e32 v66, v0
	v_add_f64 v[0:1], v[20:21], -v[10:11]
	s_waitcnt lgkmcnt(0)
	v_add_f64 v[10:11], v[101:102], -v[81:82]
	v_add_co_u32 v79, vcc_lo, v111, v85
	v_add_f64 v[26:27], v[75:76], -v[49:50]
	v_add_co_ci_u32_e32 v80, vcc_lo, v112, v86, vcc_lo
	v_add_f64 v[8:9], v[22:23], -v[29:30]
	v_add_f64 v[24:25], v[12:13], -v[37:38]
	;; [unrolled: 1-line block ×6, first 2 shown]
	v_add_co_u32 v57, vcc_lo, v111, v87
	v_lshlrev_b64 v[43:44], 4, v[68:69]
	v_add_co_ci_u32_e32 v58, vcc_lo, v112, v88, vcc_lo
	v_mov_b32_e32 v71, v92
	v_add_co_u32 v61, vcc_lo, v111, v89
	v_add_co_ci_u32_e32 v62, vcc_lo, v112, v90, vcc_lo
	v_add_co_u32 v69, vcc_lo, v111, v43
	v_fma_f64 v[42:43], v[99:100], 2.0, -v[6:7]
	v_fma_f64 v[40:41], v[18:19], 2.0, -v[4:5]
	v_lshlrev_b64 v[63:64], 4, v[70:71]
	v_lshlrev_b64 v[67:68], 4, v[47:48]
	v_add_co_ci_u32_e32 v70, vcc_lo, v112, v44, vcc_lo
	v_fma_f64 v[38:39], v[45:46], 2.0, -v[2:3]
	v_fma_f64 v[46:47], v[101:102], 2.0, -v[10:11]
	;; [unrolled: 1-line block ×10, first 2 shown]
	v_lshlrev_b64 v[65:66], 4, v[65:66]
	v_add_co_u32 v12, vcc_lo, v111, v63
	v_add_co_ci_u32_e32 v13, vcc_lo, v112, v64, vcc_lo
	v_add_co_u32 v14, vcc_lo, v111, v67
	v_add_co_ci_u32_e32 v15, vcc_lo, v112, v68, vcc_lo
	;; [unrolled: 2-line block ×3, first 2 shown]
	global_store_dwordx4 v[72:73], v[40:43], off
	global_store_dwordx4 v[105:106], v[4:7], off
	;; [unrolled: 1-line block ×12, first 2 shown]
.LBB0_15:
	s_endpgm
	.section	.rodata,"a",@progbits
	.p2align	6, 0x0
	.amdhsa_kernel fft_rtc_back_len2592_factors_6_6_6_6_2_wgs_216_tpt_216_halfLds_dp_ip_CI_sbrr_dirReg
		.amdhsa_group_segment_fixed_size 0
		.amdhsa_private_segment_fixed_size 0
		.amdhsa_kernarg_size 88
		.amdhsa_user_sgpr_count 6
		.amdhsa_user_sgpr_private_segment_buffer 1
		.amdhsa_user_sgpr_dispatch_ptr 0
		.amdhsa_user_sgpr_queue_ptr 0
		.amdhsa_user_sgpr_kernarg_segment_ptr 1
		.amdhsa_user_sgpr_dispatch_id 0
		.amdhsa_user_sgpr_flat_scratch_init 0
		.amdhsa_user_sgpr_private_segment_size 0
		.amdhsa_wavefront_size32 1
		.amdhsa_uses_dynamic_stack 0
		.amdhsa_system_sgpr_private_segment_wavefront_offset 0
		.amdhsa_system_sgpr_workgroup_id_x 1
		.amdhsa_system_sgpr_workgroup_id_y 0
		.amdhsa_system_sgpr_workgroup_id_z 0
		.amdhsa_system_sgpr_workgroup_info 0
		.amdhsa_system_vgpr_workitem_id 0
		.amdhsa_next_free_vgpr 120
		.amdhsa_next_free_sgpr 23
		.amdhsa_reserve_vcc 1
		.amdhsa_reserve_flat_scratch 0
		.amdhsa_float_round_mode_32 0
		.amdhsa_float_round_mode_16_64 0
		.amdhsa_float_denorm_mode_32 3
		.amdhsa_float_denorm_mode_16_64 3
		.amdhsa_dx10_clamp 1
		.amdhsa_ieee_mode 1
		.amdhsa_fp16_overflow 0
		.amdhsa_workgroup_processor_mode 1
		.amdhsa_memory_ordered 1
		.amdhsa_forward_progress 0
		.amdhsa_shared_vgpr_count 0
		.amdhsa_exception_fp_ieee_invalid_op 0
		.amdhsa_exception_fp_denorm_src 0
		.amdhsa_exception_fp_ieee_div_zero 0
		.amdhsa_exception_fp_ieee_overflow 0
		.amdhsa_exception_fp_ieee_underflow 0
		.amdhsa_exception_fp_ieee_inexact 0
		.amdhsa_exception_int_div_zero 0
	.end_amdhsa_kernel
	.text
.Lfunc_end0:
	.size	fft_rtc_back_len2592_factors_6_6_6_6_2_wgs_216_tpt_216_halfLds_dp_ip_CI_sbrr_dirReg, .Lfunc_end0-fft_rtc_back_len2592_factors_6_6_6_6_2_wgs_216_tpt_216_halfLds_dp_ip_CI_sbrr_dirReg
                                        ; -- End function
	.section	.AMDGPU.csdata,"",@progbits
; Kernel info:
; codeLenInByte = 9564
; NumSgprs: 25
; NumVgprs: 120
; ScratchSize: 0
; MemoryBound: 1
; FloatMode: 240
; IeeeMode: 1
; LDSByteSize: 0 bytes/workgroup (compile time only)
; SGPRBlocks: 3
; VGPRBlocks: 14
; NumSGPRsForWavesPerEU: 25
; NumVGPRsForWavesPerEU: 120
; Occupancy: 8
; WaveLimiterHint : 1
; COMPUTE_PGM_RSRC2:SCRATCH_EN: 0
; COMPUTE_PGM_RSRC2:USER_SGPR: 6
; COMPUTE_PGM_RSRC2:TRAP_HANDLER: 0
; COMPUTE_PGM_RSRC2:TGID_X_EN: 1
; COMPUTE_PGM_RSRC2:TGID_Y_EN: 0
; COMPUTE_PGM_RSRC2:TGID_Z_EN: 0
; COMPUTE_PGM_RSRC2:TIDIG_COMP_CNT: 0
	.text
	.p2alignl 6, 3214868480
	.fill 48, 4, 3214868480
	.type	__hip_cuid_736469da378f1200,@object ; @__hip_cuid_736469da378f1200
	.section	.bss,"aw",@nobits
	.globl	__hip_cuid_736469da378f1200
__hip_cuid_736469da378f1200:
	.byte	0                               ; 0x0
	.size	__hip_cuid_736469da378f1200, 1

	.ident	"AMD clang version 19.0.0git (https://github.com/RadeonOpenCompute/llvm-project roc-6.4.0 25133 c7fe45cf4b819c5991fe208aaa96edf142730f1d)"
	.section	".note.GNU-stack","",@progbits
	.addrsig
	.addrsig_sym __hip_cuid_736469da378f1200
	.amdgpu_metadata
---
amdhsa.kernels:
  - .args:
      - .actual_access:  read_only
        .address_space:  global
        .offset:         0
        .size:           8
        .value_kind:     global_buffer
      - .offset:         8
        .size:           8
        .value_kind:     by_value
      - .actual_access:  read_only
        .address_space:  global
        .offset:         16
        .size:           8
        .value_kind:     global_buffer
      - .actual_access:  read_only
        .address_space:  global
        .offset:         24
        .size:           8
        .value_kind:     global_buffer
      - .offset:         32
        .size:           8
        .value_kind:     by_value
      - .actual_access:  read_only
        .address_space:  global
        .offset:         40
        .size:           8
        .value_kind:     global_buffer
      - .actual_access:  read_only
        .address_space:  global
        .offset:         48
        .size:           8
        .value_kind:     global_buffer
      - .offset:         56
        .size:           4
        .value_kind:     by_value
      - .actual_access:  read_only
        .address_space:  global
        .offset:         64
        .size:           8
        .value_kind:     global_buffer
      - .actual_access:  read_only
        .address_space:  global
        .offset:         72
        .size:           8
        .value_kind:     global_buffer
      - .address_space:  global
        .offset:         80
        .size:           8
        .value_kind:     global_buffer
    .group_segment_fixed_size: 0
    .kernarg_segment_align: 8
    .kernarg_segment_size: 88
    .language:       OpenCL C
    .language_version:
      - 2
      - 0
    .max_flat_workgroup_size: 216
    .name:           fft_rtc_back_len2592_factors_6_6_6_6_2_wgs_216_tpt_216_halfLds_dp_ip_CI_sbrr_dirReg
    .private_segment_fixed_size: 0
    .sgpr_count:     25
    .sgpr_spill_count: 0
    .symbol:         fft_rtc_back_len2592_factors_6_6_6_6_2_wgs_216_tpt_216_halfLds_dp_ip_CI_sbrr_dirReg.kd
    .uniform_work_group_size: 1
    .uses_dynamic_stack: false
    .vgpr_count:     120
    .vgpr_spill_count: 0
    .wavefront_size: 32
    .workgroup_processor_mode: 1
amdhsa.target:   amdgcn-amd-amdhsa--gfx1030
amdhsa.version:
  - 1
  - 2
...

	.end_amdgpu_metadata
